;; amdgpu-corpus repo=linkedin/Liger-Kernel kind=triton arch=gfx950 opt=O3 lang=triton
	.amdgcn_target "amdgcn-amd-amdhsa--gfx950"
	.amdhsa_code_object_version 5
	.text
	.globl	_triton_qwen2vl_mrope           ; -- Begin function _triton_qwen2vl_mrope
	.p2align	8
	.type	_triton_qwen2vl_mrope,@function
_triton_qwen2vl_mrope:                  ; @_triton_qwen2vl_mrope
.Lfunc_begin0:
	.cfi_sections .debug_frame
	.cfi_startproc
; %bb.1:
	.file	1 "/root/src/amdgpu-assembly/repos/linkedin__Liger-Kernel/triton_aot_kernels" "qwen2vl_mrope_aot.py"
	.loc	1 8 0 prologue_end              ; qwen2vl_mrope_aot.py:8:0
	s_load_dwordx2 s[2:3], s[0:1], 0x0
	s_load_dwordx8 s[4:11], s[0:1], 0x8
	s_load_dwordx4 s[12:15], s[0:1], 0x28
	s_waitcnt lgkmcnt(0)
	s_branch .LBB0_0
	.loc	1 0 0 is_stmt 0                 ; :0:0
.Ltmp0:
	.p2align	8
; %bb.2:
.LBB0_0:
.Ltmp1:
	.loc	1 29 27 is_stmt 1               ; qwen2vl_mrope_aot.py:29:27
	s_lshl_b32 s0, s16, 12
	.loc	1 29 20 is_stmt 0               ; qwen2vl_mrope_aot.py:29:20
	s_ashr_i32 s1, s0, 31
	s_lshl_b64 s[0:1], s[0:1], 1
	s_add_u32 s12, s2, s0
	s_addc_u32 s14, s3, s1
	.loc	1 30 27 is_stmt 1               ; qwen2vl_mrope_aot.py:30:27
	s_lshl_b32 s0, s16, 10
	.loc	1 30 20 is_stmt 0               ; qwen2vl_mrope_aot.py:30:20
	s_ashr_i32 s1, s0, 31
	s_lshl_b64 s[0:1], s[0:1], 1
	s_add_u32 s0, s4, s0
	s_addc_u32 s1, s5, s1
	;; [unrolled: 7-line block ×4, first 2 shown]
	.loc	1 48 20 is_stmt 1               ; qwen2vl_mrope_aot.py:48:20
	s_add_u32 s28, s24, s6
	s_addc_u32 s11, s10, s7
	.loc	1 49 18                         ; qwen2vl_mrope_aot.py:49:18
	s_add_u32 s8, s8, s2
	s_addc_u32 s2, s9, s3
	.loc	1 50 20                         ; qwen2vl_mrope_aot.py:50:20
	;; [unrolled: 3-line block ×3, first 2 shown]
	v_readfirstlane_b32 s13, v0
	.loc	1 51 20                         ; qwen2vl_mrope_aot.py:51:20
	s_add_u32 s20, s16, s6
	.loc	1 53 31                         ; qwen2vl_mrope_aot.py:53:31
	v_and_b32_e32 v0, 63, v0
	.loc	1 51 20                         ; qwen2vl_mrope_aot.py:51:20
	s_addc_u32 s15, s3, s7
	.loc	1 57 24                         ; qwen2vl_mrope_aot.py:57:24
	v_lshlrev_b32_e32 v1, 1, v0
	v_bfrev_b32_e32 v2, 1
	.loc	1 54 27                         ; qwen2vl_mrope_aot.py:54:27
	v_subrev_co_u32_e32 v3, vcc, 16, v0
	.loc	1 60 24                         ; qwen2vl_mrope_aot.py:60:24
	s_and_b32 s9, s2, 0xffff
	.loc	1 71 61                         ; qwen2vl_mrope_aot.py:71:61
	s_lshl_b32 s2, s13, 1
	s_mov_b32 s7, 0x27000
	s_mov_b32 s6, 0x7ffffffe
	.loc	1 57 24                         ; qwen2vl_mrope_aot.py:57:24
	v_cndmask_b32_e32 v4, v2, v1, vcc
	.loc	1 55 39                         ; qwen2vl_mrope_aot.py:55:39
	v_cmp_gt_u32_e32 vcc, 24, v3
	.loc	1 71 61                         ; qwen2vl_mrope_aot.py:71:61
	s_and_b32 s2, s2, 0x180
	.loc	1 57 24                         ; qwen2vl_mrope_aot.py:57:24
	s_and_b32 s5, s5, 0xffff
	;; [unrolled: 2-line block ×3, first 2 shown]
	v_cndmask_b32_e32 v3, v2, v1, vcc
	.loc	1 59 24                         ; qwen2vl_mrope_aot.py:59:24
	s_and_b32 s29, s11, 0xffff
	.loc	1 56 23                         ; qwen2vl_mrope_aot.py:56:23
	v_cmp_lt_u32_e32 vcc, 39, v0
	.loc	1 60 24                         ; qwen2vl_mrope_aot.py:60:24
	s_mov_b32 s10, s6
	s_mov_b32 s11, s7
	.loc	1 71 66                         ; qwen2vl_mrope_aot.py:71:66
	v_or_b32_e32 v0, s2, v0
	.loc	1 58 24                         ; qwen2vl_mrope_aot.py:58:24
	s_mov_b32 s26, s6
	s_mov_b32 s27, s7
	.loc	1 59 24                         ; qwen2vl_mrope_aot.py:59:24
	s_mov_b32 s30, s6
	s_mov_b32 s31, s7
	v_cndmask_b32_e32 v1, v2, v1, vcc
	.loc	1 57 24                         ; qwen2vl_mrope_aot.py:57:24
	buffer_load_ushort v2, v4, s[4:7], 0 offen
	.loc	1 58 24                         ; qwen2vl_mrope_aot.py:58:24
	buffer_load_ushort v5, v3, s[24:27], 0 offen
	;; [unrolled: 2-line block ×3, first 2 shown]
	.loc	1 61 24                         ; qwen2vl_mrope_aot.py:61:24
	s_and_b32 s17, s3, 0xffff
	s_mov_b32 s18, s6
	s_mov_b32 s19, s7
	.loc	1 62 24                         ; qwen2vl_mrope_aot.py:62:24
	s_and_b32 s21, s15, 0xffff
	s_mov_b32 s22, s6
	s_mov_b32 s23, s7
	.loc	1 60 24                         ; qwen2vl_mrope_aot.py:60:24
	buffer_load_ushort v7, v4, s[8:11], 0 offen
	.loc	1 61 24                         ; qwen2vl_mrope_aot.py:61:24
	buffer_load_ushort v8, v3, s[16:19], 0 offen
	;; [unrolled: 2-line block ×3, first 2 shown]
	.loc	1 75 23                         ; qwen2vl_mrope_aot.py:75:23
	s_and_b32 s13, s14, 0xffff
	s_mov_b32 s14, s6
	s_mov_b32 s15, s7
	v_lshlrev_b32_e32 v0, 1, v0
	buffer_load_ushort v1, v0, s[12:15], 0 offen
	.loc	1 83 23                         ; qwen2vl_mrope_aot.py:83:23
	buffer_load_ushort v3, v0, s[12:15], 0 offen offset:3200
	buffer_load_ushort v4, v0, s[12:15], 0 offen offset:2176
	;; [unrolled: 1-line block ×4, first 2 shown]
	v_or_b32_e32 v12, 0x1000, v0
	buffer_load_ushort v13, v12, s[12:15], 0 offen offset:3200
	buffer_load_ushort v14, v12, s[12:15], 0 offen offset:2176
	buffer_load_ushort v15, v12, s[12:15], 0 offen offset:1152
	buffer_load_ushort v16, v12, s[12:15], 0 offen offset:128
	.loc	1 75 23                         ; qwen2vl_mrope_aot.py:75:23
	buffer_load_ushort v17, v0, s[12:15], 0 offen offset:1024
	buffer_load_ushort v18, v0, s[12:15], 0 offen offset:2048
	;; [unrolled: 1-line block ×3, first 2 shown]
	buffer_load_ushort v20, v12, s[12:15], 0 offen
	buffer_load_ushort v21, v12, s[12:15], 0 offen offset:1024
	buffer_load_ushort v22, v12, s[12:15], 0 offen offset:2048
	;; [unrolled: 1-line block ×3, first 2 shown]
	.loc	1 76 23                         ; qwen2vl_mrope_aot.py:76:23
	s_and_b32 s1, s1, 0xffff
	s_mov_b32 s2, s6
	s_mov_b32 s3, s7
	.loc	1 84 23                         ; qwen2vl_mrope_aot.py:84:23
	buffer_load_ushort v24, v0, s[0:3], 0 offen offset:1152
	buffer_load_ushort v25, v0, s[0:3], 0 offen offset:128
	.loc	1 76 23                         ; qwen2vl_mrope_aot.py:76:23
	buffer_load_ushort v26, v0, s[0:3], 0 offen
	buffer_load_ushort v27, v0, s[0:3], 0 offen offset:1024
	.loc	1 57 24                         ; qwen2vl_mrope_aot.py:57:24
	s_mov_b32 s4, 0x5040100
	s_waitcnt vmcnt(22)
	v_perm_b32 v2, v7, v2, s4
	.loc	1 58 24                         ; qwen2vl_mrope_aot.py:58:24
	s_waitcnt vmcnt(21)
	v_perm_b32 v5, v8, v5, s4
	.loc	1 59 24                         ; qwen2vl_mrope_aot.py:59:24
	;; [unrolled: 3-line block ×3, first 2 shown]
	v_pk_add_f16 v2, v2, v5
	.loc	1 75 23                         ; qwen2vl_mrope_aot.py:75:23
	s_waitcnt vmcnt(15)
	v_perm_b32 v1, v11, v1, s4
	.loc	1 63 38                         ; qwen2vl_mrope_aot.py:63:38
	v_pk_add_f16 v2, v2, v6
	s_nop 0
	v_lshrrev_b32_e32 v5, 16, v2
	.loc	1 88 34                         ; qwen2vl_mrope_aot.py:88:34
	v_pk_mul_f16 v6, v2, v1
	.loc	1 88 55 is_stmt 0               ; qwen2vl_mrope_aot.py:88:55
	s_waitcnt vmcnt(11)
	v_mul_f16_e32 v11, v5, v16
	.loc	1 88 44                         ; qwen2vl_mrope_aot.py:88:44
	v_alignbit_b32 v6, s0, v6, 16
	.loc	1 88 55                         ; qwen2vl_mrope_aot.py:88:55
	v_mul_f16_e32 v7, v5, v10
	v_mul_f16_e32 v8, v5, v4
	;; [unrolled: 1-line block ×6, first 2 shown]
	.loc	1 88 44                         ; qwen2vl_mrope_aot.py:88:44
	v_pk_fma_f16 v6, v2, v1, v6 neg_lo:[0,0,1] neg_hi:[0,0,1]
	s_waitcnt vmcnt(7)
	v_fma_f16 v11, v2, v20, -v11
	v_fma_f16 v7, v2, v17, -v7
	v_fma_f16 v8, v2, v18, -v8
	v_fma_f16 v9, v2, v19, -v9
	s_waitcnt vmcnt(6)
	v_fma_f16 v28, v2, v21, -v28
	s_waitcnt vmcnt(5)
	v_fma_f16 v29, v2, v22, -v29
	s_waitcnt vmcnt(4)
	v_fma_f16 v30, v2, v23, -v30
	.loc	1 89 47 is_stmt 1               ; qwen2vl_mrope_aot.py:89:47
	buffer_store_short v6, v0, s[12:15], 0 offen
	buffer_store_short v7, v0, s[12:15], 0 offen offset:1024
	buffer_store_short v8, v0, s[12:15], 0 offen offset:2048
	;; [unrolled: 1-line block ×3, first 2 shown]
	buffer_store_short v11, v12, s[12:15], 0 offen
	buffer_store_short v28, v12, s[12:15], 0 offen offset:1024
	buffer_store_short v29, v12, s[12:15], 0 offen offset:2048
	;; [unrolled: 1-line block ×3, first 2 shown]
	.loc	1 90 55                         ; qwen2vl_mrope_aot.py:90:55
	v_pk_mul_f16 v11, v2, v1 op_sel:[1,0] op_sel_hi:[0,1]
	.loc	1 90 44 is_stmt 0               ; qwen2vl_mrope_aot.py:90:44
	v_alignbit_b32 v11, s0, v11, 16
	.loc	1 90 34                         ; qwen2vl_mrope_aot.py:90:34
	v_mul_f16_e32 v6, v2, v10
	v_mul_f16_e32 v4, v2, v4
	;; [unrolled: 1-line block ×7, first 2 shown]
	.loc	1 90 44                         ; qwen2vl_mrope_aot.py:90:44
	v_pk_fma_f16 v1, v2, v1, v11 op_sel:[1,0,0] op_sel_hi:[0,1,1]
	v_fma_f16 v6, v5, v17, v6
	v_fma_f16 v4, v5, v18, v4
	;; [unrolled: 1-line block ×7, first 2 shown]
	.loc	1 91 48 is_stmt 1               ; qwen2vl_mrope_aot.py:91:48
	buffer_store_short v1, v0, s[12:15], 0 offen offset:128
	buffer_store_short v6, v0, s[12:15], 0 offen offset:1152
	;; [unrolled: 1-line block ×8, first 2 shown]
	.loc	1 93 55                         ; qwen2vl_mrope_aot.py:93:55
	s_waitcnt vmcnt(18)
	v_mul_f16_e32 v1, v5, v25
	v_mul_f16_e32 v3, v5, v24
	.loc	1 93 44 is_stmt 0               ; qwen2vl_mrope_aot.py:93:44
	s_waitcnt vmcnt(17)
	v_fma_f16 v1, v2, v26, -v1
	s_waitcnt vmcnt(16)
	v_fma_f16 v3, v2, v27, -v3
	.loc	1 94 47 is_stmt 1               ; qwen2vl_mrope_aot.py:94:47
	buffer_store_short v1, v0, s[0:3], 0 offen
	buffer_store_short v3, v0, s[0:3], 0 offen offset:1024
	.loc	1 95 34                         ; qwen2vl_mrope_aot.py:95:34
	v_mul_f16_e32 v1, v2, v25
	v_mul_f16_e32 v2, v2, v24
	.loc	1 95 44 is_stmt 0               ; qwen2vl_mrope_aot.py:95:44
	v_fma_f16 v1, v5, v26, v1
	v_fma_f16 v2, v5, v27, v2
	.loc	1 96 48 is_stmt 1               ; qwen2vl_mrope_aot.py:96:48
	buffer_store_short v1, v0, s[0:3], 0 offen offset:128
	buffer_store_short v2, v0, s[0:3], 0 offen offset:1152
	.loc	1 86 4                          ; qwen2vl_mrope_aot.py:86:4
	s_endpgm
.Ltmp2:
	.section	.rodata,"a",@progbits
	.p2align	6, 0x0
	.amdhsa_kernel _triton_qwen2vl_mrope
		.amdhsa_group_segment_fixed_size 0
		.amdhsa_private_segment_fixed_size 0
		.amdhsa_kernarg_size 56
		.amdhsa_user_sgpr_count 16
		.amdhsa_user_sgpr_dispatch_ptr 0
		.amdhsa_user_sgpr_queue_ptr 0
		.amdhsa_user_sgpr_kernarg_segment_ptr 1
		.amdhsa_user_sgpr_dispatch_id 0
		.amdhsa_user_sgpr_kernarg_preload_length 14
		.amdhsa_user_sgpr_kernarg_preload_offset 0
		.amdhsa_user_sgpr_private_segment_size 0
		.amdhsa_uses_dynamic_stack 0
		.amdhsa_enable_private_segment 0
		.amdhsa_system_sgpr_workgroup_id_x 1
		.amdhsa_system_sgpr_workgroup_id_y 0
		.amdhsa_system_sgpr_workgroup_id_z 0
		.amdhsa_system_sgpr_workgroup_info 0
		.amdhsa_system_vgpr_workitem_id 0
		.amdhsa_next_free_vgpr 31
		.amdhsa_next_free_sgpr 32
		.amdhsa_accum_offset 32
		.amdhsa_reserve_vcc 1
		.amdhsa_reserve_xnack_mask 1
		.amdhsa_float_round_mode_32 0
		.amdhsa_float_round_mode_16_64 0
		.amdhsa_float_denorm_mode_32 3
		.amdhsa_float_denorm_mode_16_64 3
		.amdhsa_dx10_clamp 1
		.amdhsa_ieee_mode 1
		.amdhsa_fp16_overflow 0
		.amdhsa_tg_split 0
		.amdhsa_exception_fp_ieee_invalid_op 0
		.amdhsa_exception_fp_denorm_src 0
		.amdhsa_exception_fp_ieee_div_zero 0
		.amdhsa_exception_fp_ieee_overflow 0
		.amdhsa_exception_fp_ieee_underflow 0
		.amdhsa_exception_fp_ieee_inexact 0
		.amdhsa_exception_int_div_zero 0
	.end_amdhsa_kernel
	.text
.Lfunc_end0:
	.size	_triton_qwen2vl_mrope, .Lfunc_end0-_triton_qwen2vl_mrope
	.cfi_endproc
                                        ; -- End function
	.set _triton_qwen2vl_mrope.num_vgpr, 31
	.set _triton_qwen2vl_mrope.num_agpr, 0
	.set _triton_qwen2vl_mrope.numbered_sgpr, 32
	.set _triton_qwen2vl_mrope.num_named_barrier, 0
	.set _triton_qwen2vl_mrope.private_seg_size, 0
	.set _triton_qwen2vl_mrope.uses_vcc, 1
	.set _triton_qwen2vl_mrope.uses_flat_scratch, 0
	.set _triton_qwen2vl_mrope.has_dyn_sized_stack, 0
	.set _triton_qwen2vl_mrope.has_recursion, 0
	.set _triton_qwen2vl_mrope.has_indirect_call, 0
	.section	.AMDGPU.csdata,"",@progbits
; Kernel info:
; codeLenInByte = 1320
; TotalNumSgprs: 38
; NumVgprs: 31
; NumAgprs: 0
; TotalNumVgprs: 31
; ScratchSize: 0
; MemoryBound: 0
; FloatMode: 240
; IeeeMode: 1
; LDSByteSize: 0 bytes/workgroup (compile time only)
; SGPRBlocks: 4
; VGPRBlocks: 3
; NumSGPRsForWavesPerEU: 38
; NumVGPRsForWavesPerEU: 31
; AccumOffset: 32
; Occupancy: 8
; WaveLimiterHint : 0
; COMPUTE_PGM_RSRC2:SCRATCH_EN: 0
; COMPUTE_PGM_RSRC2:USER_SGPR: 16
; COMPUTE_PGM_RSRC2:TRAP_HANDLER: 0
; COMPUTE_PGM_RSRC2:TGID_X_EN: 1
; COMPUTE_PGM_RSRC2:TGID_Y_EN: 0
; COMPUTE_PGM_RSRC2:TGID_Z_EN: 0
; COMPUTE_PGM_RSRC2:TIDIG_COMP_CNT: 0
; COMPUTE_PGM_RSRC3_GFX90A:ACCUM_OFFSET: 7
; COMPUTE_PGM_RSRC3_GFX90A:TG_SPLIT: 0
	.text
	.p2alignl 6, 3212836864
	.fill 256, 4, 3212836864
	.section	.AMDGPU.gpr_maximums,"",@progbits
	.set amdgpu.max_num_vgpr, 0
	.set amdgpu.max_num_agpr, 0
	.set amdgpu.max_num_sgpr, 0
	.set amdgpu.max_num_named_barrier, 0
	.text
	.section	.debug_abbrev,"",@progbits
	.byte	1                               ; Abbreviation Code
	.byte	17                              ; DW_TAG_compile_unit
	.byte	0                               ; DW_CHILDREN_no
	.byte	37                              ; DW_AT_producer
	.byte	14                              ; DW_FORM_strp
	.byte	19                              ; DW_AT_language
	.byte	5                               ; DW_FORM_data2
	.byte	3                               ; DW_AT_name
	.byte	14                              ; DW_FORM_strp
	.byte	16                              ; DW_AT_stmt_list
	.byte	23                              ; DW_FORM_sec_offset
	.byte	27                              ; DW_AT_comp_dir
	.byte	14                              ; DW_FORM_strp
	.byte	17                              ; DW_AT_low_pc
	.byte	1                               ; DW_FORM_addr
	.byte	18                              ; DW_AT_high_pc
	.byte	6                               ; DW_FORM_data4
	.byte	0                               ; EOM(1)
	.byte	0                               ; EOM(2)
	;; [unrolled: 1-line block ×3, first 2 shown]
	.section	.debug_info,"",@progbits
.Lcu_begin0:
	.long	.Ldebug_info_end0-.Ldebug_info_start0 ; Length of Unit
.Ldebug_info_start0:
	.short	4                               ; DWARF version number
	.long	.debug_abbrev                   ; Offset Into Abbrev. Section
	.byte	8                               ; Address Size (in bytes)
	.byte	1                               ; Abbrev [1] 0xb:0x1f DW_TAG_compile_unit
	.long	.Linfo_string0                  ; DW_AT_producer
	.short	2                               ; DW_AT_language
	.long	.Linfo_string1                  ; DW_AT_name
	.long	.Lline_table_start0             ; DW_AT_stmt_list
	.long	.Linfo_string2                  ; DW_AT_comp_dir
	.quad	.Lfunc_begin0                   ; DW_AT_low_pc
	.long	.Lfunc_end0-.Lfunc_begin0       ; DW_AT_high_pc
.Ldebug_info_end0:
	.section	.debug_str,"MS",@progbits,1
.Linfo_string0:
	.asciz	"triton"                        ; string offset=0
.Linfo_string1:
	.asciz	"qwen2vl_mrope_aot.py"          ; string offset=7
.Linfo_string2:
	.asciz	"/root/src/amdgpu-assembly/repos/linkedin__Liger-Kernel/triton_aot_kernels" ; string offset=28
	.section	".note.GNU-stack","",@progbits
	.amdgpu_metadata
---
amdhsa.kernels:
  - .agpr_count:     0
    .args:
      - .address_space:  global
        .offset:         0
        .size:           8
        .value_kind:     global_buffer
      - .address_space:  global
        .offset:         8
        .size:           8
        .value_kind:     global_buffer
      - .address_space:  global
        .offset:         16
        .size:           8
        .value_kind:     global_buffer
      - .address_space:  global
        .offset:         24
        .size:           8
        .value_kind:     global_buffer
      - .offset:         32
        .size:           4
        .value_kind:     by_value
      - .address_space:  global
        .offset:         40
        .size:           8
        .value_kind:     global_buffer
      - .address_space:  global
        .offset:         48
        .size:           8
        .value_kind:     global_buffer
    .group_segment_fixed_size: 0
    .kernarg_segment_align: 8
    .kernarg_segment_size: 56
    .max_flat_workgroup_size: 256
    .name:           _triton_qwen2vl_mrope
    .private_segment_fixed_size: 0
    .sgpr_count:     38
    .sgpr_spill_count: 0
    .symbol:         _triton_qwen2vl_mrope.kd
    .uniform_work_group_size: 1
    .uses_dynamic_stack: false
    .vgpr_count:     31
    .vgpr_spill_count: 0
    .wavefront_size: 64
amdhsa.target:   amdgcn-amd-amdhsa--gfx950
amdhsa.version:
  - 1
  - 2
...

	.end_amdgpu_metadata
	.section	.debug_line,"",@progbits
.Lline_table_start0:
